;; amdgpu-corpus repo=ROCm/rocFFT kind=compiled arch=gfx1201 opt=O3
	.text
	.amdgcn_target "amdgcn-amd-amdhsa--gfx1201"
	.amdhsa_code_object_version 6
	.protected	fft_rtc_fwd_len2025_factors_3_3_5_5_3_3_wgs_135_tpt_135_halfLds_half_op_CI_CI_unitstride_sbrr_dirReg ; -- Begin function fft_rtc_fwd_len2025_factors_3_3_5_5_3_3_wgs_135_tpt_135_halfLds_half_op_CI_CI_unitstride_sbrr_dirReg
	.globl	fft_rtc_fwd_len2025_factors_3_3_5_5_3_3_wgs_135_tpt_135_halfLds_half_op_CI_CI_unitstride_sbrr_dirReg
	.p2align	8
	.type	fft_rtc_fwd_len2025_factors_3_3_5_5_3_3_wgs_135_tpt_135_halfLds_half_op_CI_CI_unitstride_sbrr_dirReg,@function
fft_rtc_fwd_len2025_factors_3_3_5_5_3_3_wgs_135_tpt_135_halfLds_half_op_CI_CI_unitstride_sbrr_dirReg: ; @fft_rtc_fwd_len2025_factors_3_3_5_5_3_3_wgs_135_tpt_135_halfLds_half_op_CI_CI_unitstride_sbrr_dirReg
; %bb.0:
	s_clause 0x2
	s_load_b128 s[8:11], s[0:1], 0x0
	s_load_b128 s[4:7], s[0:1], 0x58
	;; [unrolled: 1-line block ×3, first 2 shown]
	v_mul_u32_u24_e32 v1, 0x1e6, v0
	v_mov_b32_e32 v3, 0
	s_delay_alu instid0(VALU_DEP_2) | instskip(NEXT) | instid1(VALU_DEP_1)
	v_lshrrev_b32_e32 v1, 16, v1
	v_add_nc_u32_e32 v5, ttmp9, v1
	v_mov_b32_e32 v1, 0
	v_mov_b32_e32 v2, 0
	;; [unrolled: 1-line block ×3, first 2 shown]
	s_wait_kmcnt 0x0
	v_cmp_lt_u64_e64 s2, s[10:11], 2
	s_delay_alu instid0(VALU_DEP_1)
	s_and_b32 vcc_lo, exec_lo, s2
	s_cbranch_vccnz .LBB0_8
; %bb.1:
	s_load_b64 s[2:3], s[0:1], 0x10
	v_mov_b32_e32 v1, 0
	v_mov_b32_e32 v2, 0
	s_add_nc_u64 s[16:17], s[14:15], 8
	s_add_nc_u64 s[18:19], s[12:13], 8
	s_mov_b64 s[20:21], 1
	s_delay_alu instid0(VALU_DEP_1)
	v_dual_mov_b32 v13, v2 :: v_dual_mov_b32 v12, v1
	s_wait_kmcnt 0x0
	s_add_nc_u64 s[22:23], s[2:3], 8
	s_mov_b32 s3, 0
.LBB0_2:                                ; =>This Inner Loop Header: Depth=1
	s_load_b64 s[24:25], s[22:23], 0x0
                                        ; implicit-def: $vgpr14_vgpr15
	s_mov_b32 s2, exec_lo
	s_wait_kmcnt 0x0
	v_or_b32_e32 v4, s25, v6
	s_delay_alu instid0(VALU_DEP_1)
	v_cmpx_ne_u64_e32 0, v[3:4]
	s_wait_alu 0xfffe
	s_xor_b32 s26, exec_lo, s2
	s_cbranch_execz .LBB0_4
; %bb.3:                                ;   in Loop: Header=BB0_2 Depth=1
	s_cvt_f32_u32 s2, s24
	s_cvt_f32_u32 s27, s25
	s_sub_nc_u64 s[30:31], 0, s[24:25]
	s_wait_alu 0xfffe
	s_delay_alu instid0(SALU_CYCLE_1) | instskip(SKIP_1) | instid1(SALU_CYCLE_2)
	s_fmamk_f32 s2, s27, 0x4f800000, s2
	s_wait_alu 0xfffe
	v_s_rcp_f32 s2, s2
	s_delay_alu instid0(TRANS32_DEP_1) | instskip(SKIP_1) | instid1(SALU_CYCLE_2)
	s_mul_f32 s2, s2, 0x5f7ffffc
	s_wait_alu 0xfffe
	s_mul_f32 s27, s2, 0x2f800000
	s_wait_alu 0xfffe
	s_delay_alu instid0(SALU_CYCLE_2) | instskip(SKIP_1) | instid1(SALU_CYCLE_2)
	s_trunc_f32 s27, s27
	s_wait_alu 0xfffe
	s_fmamk_f32 s2, s27, 0xcf800000, s2
	s_cvt_u32_f32 s29, s27
	s_wait_alu 0xfffe
	s_delay_alu instid0(SALU_CYCLE_1) | instskip(SKIP_1) | instid1(SALU_CYCLE_2)
	s_cvt_u32_f32 s28, s2
	s_wait_alu 0xfffe
	s_mul_u64 s[34:35], s[30:31], s[28:29]
	s_wait_alu 0xfffe
	s_mul_hi_u32 s37, s28, s35
	s_mul_i32 s36, s28, s35
	s_mul_hi_u32 s2, s28, s34
	s_mul_i32 s33, s29, s34
	s_wait_alu 0xfffe
	s_add_nc_u64 s[36:37], s[2:3], s[36:37]
	s_mul_hi_u32 s27, s29, s34
	s_mul_hi_u32 s38, s29, s35
	s_add_co_u32 s2, s36, s33
	s_wait_alu 0xfffe
	s_add_co_ci_u32 s2, s37, s27
	s_mul_i32 s34, s29, s35
	s_add_co_ci_u32 s35, s38, 0
	s_wait_alu 0xfffe
	s_add_nc_u64 s[34:35], s[2:3], s[34:35]
	s_wait_alu 0xfffe
	v_add_co_u32 v4, s2, s28, s34
	s_delay_alu instid0(VALU_DEP_1) | instskip(SKIP_1) | instid1(VALU_DEP_1)
	s_cmp_lg_u32 s2, 0
	s_add_co_ci_u32 s29, s29, s35
	v_readfirstlane_b32 s28, v4
	s_wait_alu 0xfffe
	s_delay_alu instid0(VALU_DEP_1)
	s_mul_u64 s[30:31], s[30:31], s[28:29]
	s_wait_alu 0xfffe
	s_mul_hi_u32 s35, s28, s31
	s_mul_i32 s34, s28, s31
	s_mul_hi_u32 s2, s28, s30
	s_mul_i32 s33, s29, s30
	s_wait_alu 0xfffe
	s_add_nc_u64 s[34:35], s[2:3], s[34:35]
	s_mul_hi_u32 s27, s29, s30
	s_mul_hi_u32 s28, s29, s31
	s_wait_alu 0xfffe
	s_add_co_u32 s2, s34, s33
	s_add_co_ci_u32 s2, s35, s27
	s_mul_i32 s30, s29, s31
	s_add_co_ci_u32 s31, s28, 0
	s_wait_alu 0xfffe
	s_add_nc_u64 s[30:31], s[2:3], s[30:31]
	s_wait_alu 0xfffe
	v_add_co_u32 v4, s2, v4, s30
	s_delay_alu instid0(VALU_DEP_1) | instskip(SKIP_1) | instid1(VALU_DEP_1)
	s_cmp_lg_u32 s2, 0
	s_add_co_ci_u32 s2, s29, s31
	v_mul_hi_u32 v11, v5, v4
	s_wait_alu 0xfffe
	v_mad_co_u64_u32 v[7:8], null, v5, s2, 0
	v_mad_co_u64_u32 v[9:10], null, v6, v4, 0
	;; [unrolled: 1-line block ×3, first 2 shown]
	s_delay_alu instid0(VALU_DEP_3) | instskip(SKIP_1) | instid1(VALU_DEP_4)
	v_add_co_u32 v4, vcc_lo, v11, v7
	s_wait_alu 0xfffd
	v_add_co_ci_u32_e32 v7, vcc_lo, 0, v8, vcc_lo
	s_delay_alu instid0(VALU_DEP_2) | instskip(SKIP_1) | instid1(VALU_DEP_2)
	v_add_co_u32 v4, vcc_lo, v4, v9
	s_wait_alu 0xfffd
	v_add_co_ci_u32_e32 v4, vcc_lo, v7, v10, vcc_lo
	s_wait_alu 0xfffd
	v_add_co_ci_u32_e32 v7, vcc_lo, 0, v15, vcc_lo
	s_delay_alu instid0(VALU_DEP_2) | instskip(SKIP_1) | instid1(VALU_DEP_2)
	v_add_co_u32 v4, vcc_lo, v4, v14
	s_wait_alu 0xfffd
	v_add_co_ci_u32_e32 v9, vcc_lo, 0, v7, vcc_lo
	s_delay_alu instid0(VALU_DEP_2) | instskip(SKIP_1) | instid1(VALU_DEP_3)
	v_mul_lo_u32 v10, s25, v4
	v_mad_co_u64_u32 v[7:8], null, s24, v4, 0
	v_mul_lo_u32 v11, s24, v9
	s_delay_alu instid0(VALU_DEP_2) | instskip(NEXT) | instid1(VALU_DEP_2)
	v_sub_co_u32 v7, vcc_lo, v5, v7
	v_add3_u32 v8, v8, v11, v10
	s_delay_alu instid0(VALU_DEP_1) | instskip(SKIP_1) | instid1(VALU_DEP_1)
	v_sub_nc_u32_e32 v10, v6, v8
	s_wait_alu 0xfffd
	v_subrev_co_ci_u32_e64 v10, s2, s25, v10, vcc_lo
	v_add_co_u32 v11, s2, v4, 2
	s_wait_alu 0xf1ff
	v_add_co_ci_u32_e64 v14, s2, 0, v9, s2
	v_sub_co_u32 v15, s2, v7, s24
	v_sub_co_ci_u32_e32 v8, vcc_lo, v6, v8, vcc_lo
	s_wait_alu 0xf1ff
	v_subrev_co_ci_u32_e64 v10, s2, 0, v10, s2
	s_delay_alu instid0(VALU_DEP_3) | instskip(NEXT) | instid1(VALU_DEP_3)
	v_cmp_le_u32_e32 vcc_lo, s24, v15
	v_cmp_eq_u32_e64 s2, s25, v8
	s_wait_alu 0xfffd
	v_cndmask_b32_e64 v15, 0, -1, vcc_lo
	v_cmp_le_u32_e32 vcc_lo, s25, v10
	s_wait_alu 0xfffd
	v_cndmask_b32_e64 v16, 0, -1, vcc_lo
	v_cmp_le_u32_e32 vcc_lo, s24, v7
	;; [unrolled: 3-line block ×3, first 2 shown]
	s_wait_alu 0xfffd
	v_cndmask_b32_e64 v17, 0, -1, vcc_lo
	v_cmp_eq_u32_e32 vcc_lo, s25, v10
	s_wait_alu 0xf1ff
	s_delay_alu instid0(VALU_DEP_2)
	v_cndmask_b32_e64 v7, v17, v7, s2
	s_wait_alu 0xfffd
	v_cndmask_b32_e32 v10, v16, v15, vcc_lo
	v_add_co_u32 v15, vcc_lo, v4, 1
	s_wait_alu 0xfffd
	v_add_co_ci_u32_e32 v16, vcc_lo, 0, v9, vcc_lo
	s_delay_alu instid0(VALU_DEP_3) | instskip(SKIP_1) | instid1(VALU_DEP_2)
	v_cmp_ne_u32_e32 vcc_lo, 0, v10
	s_wait_alu 0xfffd
	v_cndmask_b32_e32 v8, v16, v14, vcc_lo
	v_cndmask_b32_e32 v10, v15, v11, vcc_lo
	v_cmp_ne_u32_e32 vcc_lo, 0, v7
	s_wait_alu 0xfffd
	s_delay_alu instid0(VALU_DEP_2)
	v_dual_cndmask_b32 v15, v9, v8 :: v_dual_cndmask_b32 v14, v4, v10
.LBB0_4:                                ;   in Loop: Header=BB0_2 Depth=1
	s_wait_alu 0xfffe
	s_and_not1_saveexec_b32 s2, s26
	s_cbranch_execz .LBB0_6
; %bb.5:                                ;   in Loop: Header=BB0_2 Depth=1
	v_cvt_f32_u32_e32 v4, s24
	s_sub_co_i32 s26, 0, s24
	v_mov_b32_e32 v15, v3
	s_delay_alu instid0(VALU_DEP_2) | instskip(NEXT) | instid1(TRANS32_DEP_1)
	v_rcp_iflag_f32_e32 v4, v4
	v_mul_f32_e32 v4, 0x4f7ffffe, v4
	s_delay_alu instid0(VALU_DEP_1) | instskip(SKIP_1) | instid1(VALU_DEP_1)
	v_cvt_u32_f32_e32 v4, v4
	s_wait_alu 0xfffe
	v_mul_lo_u32 v7, s26, v4
	s_delay_alu instid0(VALU_DEP_1) | instskip(NEXT) | instid1(VALU_DEP_1)
	v_mul_hi_u32 v7, v4, v7
	v_add_nc_u32_e32 v4, v4, v7
	s_delay_alu instid0(VALU_DEP_1) | instskip(NEXT) | instid1(VALU_DEP_1)
	v_mul_hi_u32 v4, v5, v4
	v_mul_lo_u32 v7, v4, s24
	v_add_nc_u32_e32 v8, 1, v4
	s_delay_alu instid0(VALU_DEP_2) | instskip(NEXT) | instid1(VALU_DEP_1)
	v_sub_nc_u32_e32 v7, v5, v7
	v_subrev_nc_u32_e32 v9, s24, v7
	v_cmp_le_u32_e32 vcc_lo, s24, v7
	s_wait_alu 0xfffd
	s_delay_alu instid0(VALU_DEP_2) | instskip(NEXT) | instid1(VALU_DEP_1)
	v_dual_cndmask_b32 v7, v7, v9 :: v_dual_cndmask_b32 v4, v4, v8
	v_cmp_le_u32_e32 vcc_lo, s24, v7
	s_delay_alu instid0(VALU_DEP_2) | instskip(SKIP_1) | instid1(VALU_DEP_1)
	v_add_nc_u32_e32 v8, 1, v4
	s_wait_alu 0xfffd
	v_cndmask_b32_e32 v14, v4, v8, vcc_lo
.LBB0_6:                                ;   in Loop: Header=BB0_2 Depth=1
	s_wait_alu 0xfffe
	s_or_b32 exec_lo, exec_lo, s2
	v_mul_lo_u32 v4, v15, s24
	s_delay_alu instid0(VALU_DEP_2)
	v_mul_lo_u32 v9, v14, s25
	s_load_b64 s[26:27], s[18:19], 0x0
	v_mad_co_u64_u32 v[7:8], null, v14, s24, 0
	s_load_b64 s[24:25], s[16:17], 0x0
	s_add_nc_u64 s[20:21], s[20:21], 1
	s_add_nc_u64 s[16:17], s[16:17], 8
	s_wait_alu 0xfffe
	v_cmp_ge_u64_e64 s2, s[20:21], s[10:11]
	s_add_nc_u64 s[18:19], s[18:19], 8
	s_add_nc_u64 s[22:23], s[22:23], 8
	v_add3_u32 v4, v8, v9, v4
	v_sub_co_u32 v5, vcc_lo, v5, v7
	s_wait_alu 0xfffd
	s_delay_alu instid0(VALU_DEP_2) | instskip(SKIP_2) | instid1(VALU_DEP_1)
	v_sub_co_ci_u32_e32 v4, vcc_lo, v6, v4, vcc_lo
	s_and_b32 vcc_lo, exec_lo, s2
	s_wait_kmcnt 0x0
	v_mul_lo_u32 v6, s26, v4
	v_mul_lo_u32 v7, s27, v5
	v_mad_co_u64_u32 v[1:2], null, s26, v5, v[1:2]
	v_mul_lo_u32 v4, s24, v4
	v_mul_lo_u32 v8, s25, v5
	v_mad_co_u64_u32 v[12:13], null, s24, v5, v[12:13]
	s_delay_alu instid0(VALU_DEP_4) | instskip(NEXT) | instid1(VALU_DEP_2)
	v_add3_u32 v2, v7, v2, v6
	v_add3_u32 v13, v8, v13, v4
	s_wait_alu 0xfffe
	s_cbranch_vccnz .LBB0_9
; %bb.7:                                ;   in Loop: Header=BB0_2 Depth=1
	v_dual_mov_b32 v5, v14 :: v_dual_mov_b32 v6, v15
	s_branch .LBB0_2
.LBB0_8:
	v_dual_mov_b32 v13, v2 :: v_dual_mov_b32 v12, v1
	v_dual_mov_b32 v15, v6 :: v_dual_mov_b32 v14, v5
.LBB0_9:
	s_load_b64 s[0:1], s[0:1], 0x28
	v_mul_hi_u32 v38, 0x1e573ad, v0
	s_lshl_b64 s[10:11], s[10:11], 3
                                        ; implicit-def: $vgpr22
	s_wait_kmcnt 0x0
	v_cmp_gt_u64_e32 vcc_lo, s[0:1], v[14:15]
	v_cmp_le_u64_e64 s0, s[0:1], v[14:15]
	s_delay_alu instid0(VALU_DEP_1)
	s_and_saveexec_b32 s1, s0
	s_wait_alu 0xfffe
	s_xor_b32 s0, exec_lo, s1
; %bb.10:
	v_mul_u32_u24_e32 v1, 0x87, v38
                                        ; implicit-def: $vgpr38
	s_delay_alu instid0(VALU_DEP_1)
	v_sub_nc_u32_e32 v22, v0, v1
                                        ; implicit-def: $vgpr0
                                        ; implicit-def: $vgpr1_vgpr2
; %bb.11:
	s_wait_alu 0xfffe
	s_or_saveexec_b32 s1, s0
	s_add_nc_u64 s[2:3], s[14:15], s[10:11]
                                        ; implicit-def: $vgpr19
                                        ; implicit-def: $vgpr11
                                        ; implicit-def: $vgpr20
                                        ; implicit-def: $vgpr18
                                        ; implicit-def: $vgpr8
                                        ; implicit-def: $vgpr5
                                        ; implicit-def: $vgpr25
                                        ; implicit-def: $vgpr23
                                        ; implicit-def: $vgpr27
                                        ; implicit-def: $vgpr21
                                        ; implicit-def: $vgpr9
                                        ; implicit-def: $vgpr4
                                        ; implicit-def: $vgpr30
                                        ; implicit-def: $vgpr26
                                        ; implicit-def: $vgpr31
                                        ; implicit-def: $vgpr24
                                        ; implicit-def: $vgpr16
                                        ; implicit-def: $vgpr3
                                        ; implicit-def: $vgpr34
                                        ; implicit-def: $vgpr29
                                        ; implicit-def: $vgpr35
                                        ; implicit-def: $vgpr28
                                        ; implicit-def: $vgpr10
                                        ; implicit-def: $vgpr6
                                        ; implicit-def: $vgpr36
                                        ; implicit-def: $vgpr33
                                        ; implicit-def: $vgpr37
                                        ; implicit-def: $vgpr32
                                        ; implicit-def: $vgpr17
                                        ; implicit-def: $vgpr7
	s_wait_alu 0xfffe
	s_xor_b32 exec_lo, exec_lo, s1
	s_cbranch_execz .LBB0_13
; %bb.12:
	s_add_nc_u64 s[10:11], s[12:13], s[10:11]
	v_lshlrev_b64_e32 v[1:2], 2, v[1:2]
	s_load_b64 s[10:11], s[10:11], 0x0
	s_wait_kmcnt 0x0
	v_mul_lo_u32 v5, s11, v14
	v_mul_lo_u32 v6, s10, v15
	v_mad_co_u64_u32 v[3:4], null, s10, v14, 0
	s_delay_alu instid0(VALU_DEP_1) | instskip(SKIP_1) | instid1(VALU_DEP_2)
	v_add3_u32 v4, v4, v6, v5
	v_mul_u32_u24_e32 v5, 0x87, v38
	v_lshlrev_b64_e32 v[3:4], 2, v[3:4]
	s_delay_alu instid0(VALU_DEP_2) | instskip(NEXT) | instid1(VALU_DEP_2)
	v_sub_nc_u32_e32 v22, v0, v5
	v_add_co_u32 v0, s0, s4, v3
	s_wait_alu 0xf1ff
	s_delay_alu instid0(VALU_DEP_3) | instskip(NEXT) | instid1(VALU_DEP_3)
	v_add_co_ci_u32_e64 v3, s0, s5, v4, s0
	v_lshlrev_b32_e32 v4, 2, v22
	s_delay_alu instid0(VALU_DEP_3) | instskip(SKIP_1) | instid1(VALU_DEP_3)
	v_add_co_u32 v0, s0, v0, v1
	s_wait_alu 0xf1ff
	v_add_co_ci_u32_e64 v1, s0, v3, v2, s0
	s_delay_alu instid0(VALU_DEP_2) | instskip(SKIP_1) | instid1(VALU_DEP_2)
	v_add_co_u32 v0, s0, v0, v4
	s_wait_alu 0xf1ff
	v_add_co_ci_u32_e64 v1, s0, 0, v1, s0
	s_clause 0xe
	global_load_b32 v32, v[0:1], off offset:2700
	global_load_b32 v7, v[0:1], off
	global_load_b32 v33, v[0:1], off offset:5400
	global_load_b32 v6, v[0:1], off offset:540
	;; [unrolled: 1-line block ×13, first 2 shown]
	s_wait_loadcnt 0xe
	v_lshrrev_b32_e32 v37, 16, v32
	s_wait_loadcnt 0xd
	v_lshrrev_b32_e32 v17, 16, v7
	;; [unrolled: 2-line block ×15, first 2 shown]
.LBB0_13:
	s_or_b32 exec_lo, exec_lo, s1
	v_add_f16_e32 v0, v33, v32
	v_add_f16_e32 v1, v32, v7
	;; [unrolled: 1-line block ×3, first 2 shown]
	v_sub_f16_e32 v2, v37, v36
	v_sub_f16_e32 v32, v32, v33
	v_fmac_f16_e32 v7, -0.5, v0
	v_add_f16_e32 v0, v37, v17
	v_fmac_f16_e32 v17, -0.5, v38
	v_add_f16_e32 v1, v33, v1
	s_load_b64 s[2:3], s[2:3], 0x0
	v_fmamk_f16 v33, v2, 0x3aee, v7
	v_add_f16_e32 v36, v36, v0
	v_add_f16_e32 v0, v29, v28
	v_fmac_f16_e32 v7, 0xbaee, v2
	v_fmamk_f16 v37, v32, 0xbaee, v17
	v_add_f16_e32 v2, v28, v6
	v_fmac_f16_e32 v17, 0x3aee, v32
	v_add_f16_e32 v32, v34, v35
	v_fmac_f16_e32 v6, -0.5, v0
	v_sub_f16_e32 v0, v35, v34
	v_add_f16_e32 v2, v29, v2
	v_add_f16_e32 v35, v35, v10
	v_fmac_f16_e32 v10, -0.5, v32
	v_sub_f16_e32 v28, v28, v29
	v_fmamk_f16 v29, v0, 0x3aee, v6
	v_fmac_f16_e32 v6, 0xbaee, v0
	v_add_f16_e32 v0, v26, v24
	v_add_f16_e32 v32, v34, v35
	v_fmamk_f16 v34, v28, 0xbaee, v10
	v_add_f16_e32 v35, v24, v3
	v_fmac_f16_e32 v10, 0x3aee, v28
	v_add_f16_e32 v28, v30, v31
	v_fmac_f16_e32 v3, -0.5, v0
	v_sub_f16_e32 v0, v31, v30
	v_add_f16_e32 v35, v26, v35
	v_add_f16_e32 v31, v31, v16
	v_fmac_f16_e32 v16, -0.5, v28
	v_sub_f16_e32 v24, v24, v26
	v_fmamk_f16 v26, v0, 0x3aee, v3
	v_fmac_f16_e32 v3, 0xbaee, v0
	v_add_f16_e32 v0, v23, v21
	v_add_f16_e32 v28, v30, v31
	;; [unrolled: 14-line block ×3, first 2 shown]
	v_fmamk_f16 v39, v21, 0xbaee, v9
	v_fmac_f16_e32 v9, 0x3aee, v21
	v_add_f16_e32 v21, v19, v20
	v_fmac_f16_e32 v5, -0.5, v0
	v_sub_f16_e32 v0, v20, v19
	v_add_f16_e32 v20, v20, v8
	v_add_f16_e32 v40, v11, v24
	v_sub_f16_e32 v11, v18, v11
	v_fmac_f16_e32 v8, -0.5, v21
	v_fmamk_f16 v18, v0, 0x3aee, v5
	v_fmac_f16_e32 v5, 0xbaee, v0
	v_add_f16_e32 v19, v19, v20
	v_mad_u32_u24 v20, v22, 6, 0
	v_lshlrev_b32_e32 v0, 2, v22
	ds_store_b16 v20, v1
	ds_store_b16 v20, v33 offset:2
	ds_store_b16 v20, v7 offset:4
	;; [unrolled: 1-line block ×14, first 2 shown]
	v_sub_nc_u32_e32 v23, v20, v0
	v_fmamk_f16 v21, v11, 0xbaee, v8
	v_fmac_f16_e32 v8, 0x3aee, v11
	global_wb scope:SCOPE_SE
	s_wait_dscnt 0x0
	s_wait_kmcnt 0x0
	s_barrier_signal -1
	s_barrier_wait -1
	global_inv scope:SCOPE_SE
	ds_load_u16 v5, v23 offset:1890
	ds_load_u16 v4, v23
	ds_load_u16 v3, v23 offset:270
	ds_load_u16 v1, v23 offset:540
	;; [unrolled: 1-line block ×13, first 2 shown]
	global_wb scope:SCOPE_SE
	s_wait_dscnt 0x0
	s_barrier_signal -1
	s_barrier_wait -1
	global_inv scope:SCOPE_SE
	ds_store_b16 v20, v36
	ds_store_b16 v20, v37 offset:2
	ds_store_b16 v20, v17 offset:4
	;; [unrolled: 1-line block ×7, first 2 shown]
	v_and_b32_e32 v10, 0xff, v22
	v_add_f16_e32 v38, v25, v27
	v_add_nc_u32_e32 v24, 0x87, v22
	v_add_nc_u32_e32 v25, 0x10e, v22
	ds_store_b16 v20, v16 offset:1624
	ds_store_b16 v20, v38 offset:2430
	;; [unrolled: 1-line block ×7, first 2 shown]
	v_mul_lo_u16 v8, 0xab, v10
	v_add_nc_u32_e32 v26, 0x195, v22
	v_and_b32_e32 v9, 0xffff, v24
	v_add_nc_u32_e32 v27, 0x21c, v22
	global_wb scope:SCOPE_SE
	s_wait_dscnt 0x0
	v_lshrrev_b16 v21, 9, v8
	v_and_b32_e32 v8, 0xffff, v25
	v_mul_u32_u24_e32 v16, 0xaaab, v9
	v_and_b32_e32 v18, 0xffff, v26
	v_and_b32_e32 v19, 0xffff, v27
	v_mul_lo_u16 v17, v21, 3
	v_mul_u32_u24_e32 v20, 0xaaab, v8
	v_lshrrev_b32_e32 v30, 17, v16
	v_mul_u32_u24_e32 v16, 0xaaab, v18
	v_mul_u32_u24_e32 v28, 0xaaab, v19
	v_sub_nc_u16 v17, v22, v17
	v_lshrrev_b32_e32 v38, 17, v20
	v_mul_lo_u16 v20, v30, 3
	v_lshrrev_b32_e32 v39, 17, v16
	v_lshrrev_b32_e32 v46, 17, v28
	v_and_b32_e32 v47, 0xff, v17
	v_mul_lo_u16 v16, v38, 3
	v_sub_nc_u16 v17, v24, v20
	v_mul_lo_u16 v20, v39, 3
	v_mul_lo_u16 v28, v46, 3
	v_lshlrev_b32_e32 v29, 3, v47
	v_sub_nc_u16 v31, v25, v16
	v_and_b32_e32 v48, 0xffff, v17
	v_sub_nc_u16 v20, v26, v20
	v_sub_nc_u16 v28, v27, v28
	s_barrier_signal -1
	v_and_b32_e32 v49, 0xffff, v31
	s_barrier_wait -1
	v_and_b32_e32 v50, 0xffff, v20
	v_lshlrev_b32_e32 v20, 3, v48
	v_and_b32_e32 v51, 0xffff, v28
	global_inv scope:SCOPE_SE
	global_load_b64 v[16:17], v29, s[8:9]
	v_lshlrev_b32_e32 v31, 3, v49
	v_lshlrev_b32_e32 v34, 3, v50
	global_load_b64 v[28:29], v20, s[8:9]
	v_lshlrev_b32_e32 v20, 3, v51
	s_clause 0x2
	global_load_b64 v[32:33], v31, s[8:9]
	global_load_b64 v[34:35], v34, s[8:9]
	;; [unrolled: 1-line block ×3, first 2 shown]
	ds_load_u16 v53, v23 offset:1890
	ds_load_u16 v54, v23
	ds_load_u16 v55, v23 offset:270
	ds_load_u16 v56, v23 offset:540
	;; [unrolled: 1-line block ×13, first 2 shown]
	v_mul_u32_u24_e32 v52, 0xe38f, v8
	v_and_b32_e32 v65, 0xffff, v21
	v_mul_u32_u24_e32 v30, 18, v30
	v_mul_u32_u24_e32 v38, 18, v38
	v_lshlrev_b32_e32 v48, 1, v48
	v_lshlrev_b32_e32 v49, 1, v49
	v_lshrrev_b32_e32 v21, 19, v52
	v_mul_u32_u24_e32 v52, 18, v65
	v_mul_u32_u24_e32 v39, 18, v39
	;; [unrolled: 1-line block ×3, first 2 shown]
	v_lshlrev_b32_e32 v47, 1, v47
	v_lshlrev_b32_e32 v50, 1, v50
	;; [unrolled: 1-line block ×3, first 2 shown]
	v_add3_u32 v30, 0, v30, v48
	v_add3_u32 v49, 0, v38, v49
	;; [unrolled: 1-line block ×5, first 2 shown]
	v_mul_lo_u16 v20, v10, 57
	v_mul_u32_u24_e32 v31, 0xe38f, v9
	global_wb scope:SCOPE_SE
	s_wait_loadcnt_dscnt 0x0
	s_barrier_signal -1
	s_barrier_wait -1
	v_lshrrev_b16 v20, 9, v20
	v_lshrrev_b32_e32 v31, 19, v31
	global_inv scope:SCOPE_SE
	v_mul_lo_u16 v10, 0x6d, v10
	v_mul_u32_u24_e32 v8, 0x2d83, v8
	v_mul_lo_u16 v69, v20, 9
	v_mul_u32_u24_e32 v9, 0x2d83, v9
	v_cmp_gt_u32_e64 s0, 0x5a, v22
	v_lshrrev_b16 v10, 8, v10
	s_delay_alu instid0(VALU_DEP_4)
	v_sub_nc_u16 v65, v22, v69
	v_mul_lo_u16 v69, v31, 9
	v_lshrrev_b32_e32 v48, 16, v16
	v_lshrrev_b32_e32 v38, 16, v17
	;; [unrolled: 1-line block ×4, first 2 shown]
	s_delay_alu instid0(VALU_DEP_4)
	v_mul_f16_e32 v39, v60, v48
	v_mul_f16_e32 v46, v41, v48
	;; [unrolled: 1-line block ×4, first 2 shown]
	v_lshrrev_b32_e32 v71, 16, v32
	v_lshrrev_b32_e32 v72, 16, v33
	;; [unrolled: 1-line block ×6, first 2 shown]
	v_fma_f16 v39, v41, v16, -v39
	v_fmac_f16_e32 v46, v60, v16
	v_fma_f16 v16, v44, v17, -v48
	v_fmac_f16_e32 v38, v67, v17
	v_mul_f16_e32 v17, v59, v52
	v_mul_f16_e32 v41, v40, v52
	;; [unrolled: 1-line block ×16, first 2 shown]
	v_fma_f16 v17, v40, v28, -v17
	v_fmac_f16_e32 v41, v59, v28
	v_fma_f16 v28, v43, v29, -v44
	v_fmac_f16_e32 v48, v66, v29
	;; [unrolled: 2-line block ×4, first 2 shown]
	v_fma_f16 v6, v6, v34, -v71
	v_fma_f16 v11, v11, v35, -v73
	;; [unrolled: 1-line block ×3, first 2 shown]
	v_fmac_f16_e32 v75, v68, v36
	v_add_f16_e32 v33, v4, v39
	v_add_f16_e32 v36, v54, v46
	v_fmac_f16_e32 v72, v58, v34
	v_fmac_f16_e32 v74, v63, v35
	v_fma_f16 v7, v7, v37, -v78
	v_add_f16_e32 v34, v39, v16
	v_fmac_f16_e32 v76, v64, v37
	v_add_f16_e32 v37, v46, v38
	v_sub_f16_e32 v39, v39, v16
	v_add_f16_e32 v16, v33, v16
	v_add_f16_e32 v33, v36, v38
	;; [unrolled: 1-line block ×9, first 2 shown]
	v_sub_f16_e32 v35, v46, v38
	v_fmac_f16_e32 v4, -0.5, v34
	v_add_f16_e32 v34, v3, v17
	v_fmac_f16_e32 v54, -0.5, v37
	v_sub_f16_e32 v37, v41, v48
	v_add_f16_e32 v38, v55, v41
	v_add_f16_e32 v41, v1, v5
	v_sub_f16_e32 v43, v60, v70
	v_add_f16_e32 v44, v56, v60
	v_sub_f16_e32 v5, v5, v29
	;; [unrolled: 2-line block ×3, first 2 shown]
	v_add_f16_e32 v60, v2, v32
	v_add_f16_e32 v66, v75, v76
	v_fmac_f16_e32 v3, -0.5, v36
	v_fmac_f16_e32 v56, -0.5, v45
	;; [unrolled: 1-line block ×3, first 2 shown]
	v_sub_f16_e32 v17, v17, v28
	v_add_f16_e32 v58, v57, v72
	v_sub_f16_e32 v6, v6, v11
	v_sub_f16_e32 v63, v75, v76
	v_fmac_f16_e32 v55, -0.5, v40
	v_fmac_f16_e32 v1, -0.5, v42
	;; [unrolled: 1-line block ×4, first 2 shown]
	v_fmamk_f16 v67, v35, 0x3aee, v4
	v_fmac_f16_e32 v4, 0xbaee, v35
	v_add_f16_e32 v28, v34, v28
	v_add_f16_e32 v64, v61, v75
	v_sub_f16_e32 v32, v32, v7
	v_add_f16_e32 v7, v60, v7
	v_fmac_f16_e32 v61, -0.5, v66
	v_fmamk_f16 v34, v37, 0x3aee, v3
	v_fmamk_f16 v60, v5, 0xbaee, v56
	v_fmac_f16_e32 v56, 0x3aee, v5
	v_fmamk_f16 v5, v53, 0x3aee, v0
	v_fmac_f16_e32 v0, 0xbaee, v53
	v_add_f16_e32 v29, v41, v29
	v_add_f16_e32 v11, v46, v11
	v_fmac_f16_e32 v3, 0xbaee, v37
	v_fmamk_f16 v59, v17, 0xbaee, v55
	v_fmac_f16_e32 v55, 0x3aee, v17
	v_fmamk_f16 v17, v43, 0x3aee, v1
	;; [unrolled: 2-line block ×4, first 2 shown]
	v_fmac_f16_e32 v2, 0xbaee, v63
	ds_store_b16 v47, v16
	ds_store_b16 v47, v67 offset:6
	ds_store_b16 v47, v4 offset:12
	ds_store_b16 v30, v28
	ds_store_b16 v30, v34 offset:6
	ds_store_b16 v30, v3 offset:12
	;; [unrolled: 3-line block ×5, first 2 shown]
	v_mul_lo_u16 v0, v21, 9
	v_fmamk_f16 v62, v32, 0xbaee, v61
	v_fmac_f16_e32 v61, 0x3aee, v32
	v_sub_nc_u16 v1, v24, v69
	v_and_b32_e32 v32, 0xff, v65
	v_fmamk_f16 v35, v39, 0xbaee, v54
	v_sub_nc_u16 v0, v25, v0
	v_fmac_f16_e32 v54, 0x3aee, v39
	v_add_f16_e32 v48, v38, v48
	v_add_f16_e32 v68, v44, v70
	;; [unrolled: 1-line block ×4, first 2 shown]
	global_wb scope:SCOPE_SE
	s_wait_dscnt 0x0
	s_barrier_signal -1
	s_barrier_wait -1
	global_inv scope:SCOPE_SE
	ds_load_u16 v17, v23
	ds_load_u16 v11, v23 offset:270
	ds_load_u16 v37, v23 offset:1890
	;; [unrolled: 1-line block ×14, first 2 shown]
	global_wb scope:SCOPE_SE
	s_wait_dscnt 0x0
	s_barrier_signal -1
	s_barrier_wait -1
	global_inv scope:SCOPE_SE
	ds_store_b16 v47, v33
	ds_store_b16 v47, v35 offset:6
	ds_store_b16 v47, v54 offset:12
	ds_store_b16 v30, v48
	ds_store_b16 v30, v59 offset:6
	ds_store_b16 v30, v55 offset:12
	;; [unrolled: 3-line block ×5, first 2 shown]
	v_and_b32_e32 v35, 0xffff, v1
	v_lshlrev_b32_e32 v1, 4, v32
	v_and_b32_e32 v51, 0xffff, v0
	global_wb scope:SCOPE_SE
	s_wait_dscnt 0x0
	s_barrier_signal -1
	s_barrier_wait -1
	global_inv scope:SCOPE_SE
	v_lshlrev_b32_e32 v0, 4, v35
	global_load_b128 v[47:50], v1, s[8:9] offset:24
	v_lshlrev_b32_e32 v1, 4, v51
	s_clause 0x1
	global_load_b128 v[4:7], v0, s[8:9] offset:24
	global_load_b128 v[0:3], v1, s[8:9] offset:24
	v_sub_nc_u16 v28, v22, v10
	v_lshrrev_b32_e32 v30, 19, v8
	v_lshrrev_b32_e32 v29, 19, v9
	v_and_b32_e32 v8, 0xffff, v20
	v_mul_u32_u24_e32 v20, 0x5a, v31
	v_lshrrev_b16 v28, 1, v28
	v_mul_u32_u24_e32 v21, 0x5a, v21
	v_mul_lo_u16 v9, v29, 45
	v_mul_u32_u24_e32 v8, 0x5a, v8
	v_lshlrev_b32_e32 v52, 1, v32
	v_and_b32_e32 v28, 0x7f, v28
	s_delay_alu instid0(VALU_DEP_4) | instskip(NEXT) | instid1(VALU_DEP_3)
	v_sub_nc_u16 v9, v24, v9
	v_add3_u32 v8, 0, v8, v52
	s_delay_alu instid0(VALU_DEP_3) | instskip(NEXT) | instid1(VALU_DEP_3)
	v_add_nc_u16 v10, v28, v10
	v_and_b32_e32 v32, 0xffff, v9
	v_lshlrev_b32_e32 v9, 1, v35
	s_delay_alu instid0(VALU_DEP_3) | instskip(SKIP_1) | instid1(VALU_DEP_3)
	v_lshrrev_b16 v28, 5, v10
	v_mul_lo_u16 v10, v30, 45
	v_add3_u32 v9, 0, v20, v9
	s_delay_alu instid0(VALU_DEP_3) | instskip(NEXT) | instid1(VALU_DEP_3)
	v_mul_lo_u16 v31, v28, 45
	v_sub_nc_u16 v10, v25, v10
	v_and_b32_e32 v28, 0xffff, v28
	s_delay_alu instid0(VALU_DEP_3) | instskip(NEXT) | instid1(VALU_DEP_3)
	v_sub_nc_u16 v31, v22, v31
	v_and_b32_e32 v33, 0xffff, v10
	v_lshlrev_b32_e32 v10, 1, v51
	v_lshlrev_b32_e32 v51, 4, v32
	;; [unrolled: 1-line block ×3, first 2 shown]
	v_and_b32_e32 v35, 0xff, v31
	v_mul_u32_u24_e32 v28, 0x1c2, v28
	v_add3_u32 v10, 0, v21, v10
	ds_load_u16 v21, v23
	ds_load_u16 v52, v23 offset:270
	ds_load_u16 v31, v23 offset:1890
	;; [unrolled: 1-line block ×14, first 2 shown]
	global_wb scope:SCOPE_SE
	s_wait_loadcnt_dscnt 0x0
	v_lshlrev_b32_e32 v20, 4, v35
	s_barrier_signal -1
	s_barrier_wait -1
	global_inv scope:SCOPE_SE
	v_lshlrev_b32_e32 v35, 1, v35
	s_delay_alu instid0(VALU_DEP_1)
	v_add3_u32 v28, 0, v28, v35
	v_lshrrev_b32_e32 v65, 16, v47
	v_lshrrev_b32_e32 v66, 16, v48
	;; [unrolled: 1-line block ×12, first 2 shown]
	v_mul_f16_e32 v77, v56, v65
	v_mul_f16_e32 v78, v53, v66
	;; [unrolled: 1-line block ×24, first 2 shown]
	v_fma_f16 v45, v45, v47, -v77
	v_fma_f16 v42, v42, v48, -v78
	;; [unrolled: 1-line block ×4, first 2 shown]
	v_fmac_f16_e32 v65, v56, v47
	v_fmac_f16_e32 v66, v53, v48
	;; [unrolled: 1-line block ×4, first 2 shown]
	v_fma_f16 v40, v40, v4, -v81
	v_fmac_f16_e32 v69, v55, v4
	v_fma_f16 v4, v37, v5, -v82
	v_fmac_f16_e32 v70, v31, v5
	;; [unrolled: 2-line block ×8, first 2 shown]
	v_sub_f16_e32 v41, v42, v45
	v_sub_f16_e32 v43, v46, v44
	v_add_f16_e32 v31, v42, v46
	v_sub_f16_e32 v37, v45, v42
	v_sub_f16_e32 v38, v44, v46
	v_add_f16_e32 v39, v45, v44
	v_add_f16_e32 v47, v21, v65
	;; [unrolled: 1-line block ×3, first 2 shown]
	v_sub_f16_e32 v50, v65, v66
	v_sub_f16_e32 v53, v68, v67
	v_add_f16_e32 v3, v17, v45
	v_add_f16_e32 v54, v65, v68
	v_sub_f16_e32 v55, v66, v65
	v_sub_f16_e32 v56, v67, v68
	v_add_f16_e32 v59, v4, v5
	v_add_f16_e32 v64, v40, v6
	;; [unrolled: 1-line block ×13, first 2 shown]
	v_sub_f16_e32 v34, v65, v68
	v_sub_f16_e32 v36, v66, v67
	;; [unrolled: 1-line block ×4, first 2 shown]
	v_add_f16_e32 v37, v37, v38
	v_sub_f16_e32 v38, v73, v74
	v_fma_f16 v31, -0.5, v31, v17
	v_fmac_f16_e32 v17, -0.5, v39
	v_sub_f16_e32 v39, v76, v75
	v_sub_f16_e32 v73, v74, v73
	v_add_f16_e32 v47, v47, v66
	v_sub_f16_e32 v66, v75, v76
	v_add_f16_e32 v50, v50, v53
	v_fma_f16 v53, -0.5, v48, v21
	v_sub_f16_e32 v49, v42, v46
	v_add_f16_e32 v3, v3, v42
	v_fmac_f16_e32 v21, -0.5, v54
	v_sub_f16_e32 v61, v70, v71
	v_add_f16_e32 v48, v55, v56
	v_fma_f16 v55, -0.5, v59, v11
	v_fmac_f16_e32 v11, -0.5, v64
	v_sub_f16_e32 v60, v69, v72
	v_sub_f16_e32 v62, v40, v4
	;; [unrolled: 1-line block ×13, first 2 shown]
	v_add_f16_e32 v4, v58, v4
	v_add_f16_e32 v58, v78, v70
	v_fma_f16 v59, -0.5, v79, v52
	v_fmac_f16_e32 v52, -0.5, v83
	v_add_f16_e32 v0, v85, v0
	v_fma_f16 v64, -0.5, v86, v16
	v_fmac_f16_e32 v16, -0.5, v91
	;; [unrolled: 3-line block ×3, first 2 shown]
	v_add_f16_e32 v38, v38, v39
	v_add_f16_e32 v39, v73, v66
	v_fmamk_f16 v43, v34, 0x3b9c, v31
	v_fmamk_f16 v66, v45, 0xbb9c, v53
	v_add_f16_e32 v3, v3, v46
	v_fmamk_f16 v46, v36, 0xbb9c, v17
	v_add_f16_e32 v47, v47, v67
	v_fmamk_f16 v67, v49, 0x3b9c, v21
	v_fmac_f16_e32 v17, 0x3b9c, v36
	v_fmac_f16_e32 v21, 0xbb9c, v49
	v_fmac_f16_e32 v31, 0xbb9c, v34
	v_fmac_f16_e32 v53, 0x3b9c, v45
	v_fmamk_f16 v73, v61, 0xbb9c, v11
	v_fmac_f16_e32 v11, 0x3b9c, v61
	v_sub_f16_e32 v63, v6, v5
	v_sub_f16_e32 v82, v72, v71
	;; [unrolled: 1-line block ×5, first 2 shown]
	v_add_f16_e32 v56, v65, v77
	v_add_f16_e32 v4, v4, v5
	v_fmamk_f16 v5, v60, 0x3b9c, v55
	v_fmac_f16_e32 v55, 0xbb9c, v60
	v_add_f16_e32 v58, v58, v71
	v_fmamk_f16 v71, v40, 0xbb9c, v59
	v_fmac_f16_e32 v59, 0x3b9c, v40
	v_fmamk_f16 v77, v80, 0x3b9c, v52
	v_fmac_f16_e32 v52, 0xbb9c, v80
	v_add_f16_e32 v0, v0, v1
	v_fmamk_f16 v1, v87, 0x3b9c, v64
	v_fmac_f16_e32 v64, 0xbb9c, v87
	;; [unrolled: 5-line block ×3, first 2 shown]
	v_fmamk_f16 v79, v42, 0x3b9c, v57
	v_fmac_f16_e32 v57, 0xbb9c, v42
	v_fmac_f16_e32 v43, 0x38b4, v36
	v_fmac_f16_e32 v66, 0xb8b4, v49
	v_fmac_f16_e32 v46, 0x38b4, v34
	v_fmac_f16_e32 v67, 0xb8b4, v45
	v_fmac_f16_e32 v17, 0xb8b4, v34
	v_fmac_f16_e32 v21, 0x38b4, v45
	v_fmac_f16_e32 v31, 0xb8b4, v36
	v_fmac_f16_e32 v53, 0x38b4, v49
	v_fmac_f16_e32 v11, 0xb8b4, v60
	v_add_f16_e32 v54, v62, v63
	v_add_f16_e32 v62, v81, v82
	;; [unrolled: 1-line block ×7, first 2 shown]
	v_fmac_f16_e32 v5, 0x38b4, v61
	v_fmac_f16_e32 v55, 0xb8b4, v61
	v_fmac_f16_e32 v73, 0x38b4, v60
	v_fmac_f16_e32 v71, 0xb8b4, v80
	v_fmac_f16_e32 v59, 0x38b4, v80
	v_fmac_f16_e32 v77, 0xb8b4, v40
	v_fmac_f16_e32 v52, 0x38b4, v40
	v_fmac_f16_e32 v1, 0x38b4, v88
	v_fmac_f16_e32 v64, 0xb8b4, v88
	v_fmac_f16_e32 v78, 0x38b4, v87
	v_fmac_f16_e32 v16, 0xb8b4, v87
	v_fmac_f16_e32 v75, 0xb8b4, v42
	v_fmac_f16_e32 v74, 0x38b4, v42
	v_fmac_f16_e32 v79, 0xb8b4, v7
	v_fmac_f16_e32 v57, 0x38b4, v7
	v_fmac_f16_e32 v43, 0x34f2, v37
	v_fmac_f16_e32 v66, 0x34f2, v50
	v_fmac_f16_e32 v46, 0x34f2, v41
	v_fmac_f16_e32 v67, 0x34f2, v48
	v_fmac_f16_e32 v17, 0x34f2, v41
	v_fmac_f16_e32 v21, 0x34f2, v48
	v_add_f16_e32 v0, v0, v2
	v_fmac_f16_e32 v31, 0x34f2, v37
	v_fmac_f16_e32 v53, 0x34f2, v50
	;; [unrolled: 1-line block ×3, first 2 shown]
	v_add_f16_e32 v4, v4, v6
	v_add_f16_e32 v6, v58, v72
	;; [unrolled: 1-line block ×3, first 2 shown]
	v_fmac_f16_e32 v5, 0x34f2, v54
	v_fmac_f16_e32 v55, 0x34f2, v54
	;; [unrolled: 1-line block ×15, first 2 shown]
	ds_store_b16 v8, v3
	ds_store_b16 v8, v43 offset:18
	ds_store_b16 v8, v46 offset:36
	ds_store_b16 v8, v17 offset:54
	ds_store_b16 v8, v31 offset:72
	ds_store_b16 v9, v4
	ds_store_b16 v9, v5 offset:18
	ds_store_b16 v9, v73 offset:36
	ds_store_b16 v9, v11 offset:54
	ds_store_b16 v9, v55 offset:72
	;; [unrolled: 5-line block ×3, first 2 shown]
	global_wb scope:SCOPE_SE
	s_wait_dscnt 0x0
	s_barrier_signal -1
	s_barrier_wait -1
	global_inv scope:SCOPE_SE
	ds_load_u16 v36, v23
	ds_load_u16 v31, v23 offset:270
	ds_load_u16 v39, v23 offset:1890
	;; [unrolled: 1-line block ×14, first 2 shown]
	global_wb scope:SCOPE_SE
	s_wait_dscnt 0x0
	s_barrier_signal -1
	s_barrier_wait -1
	global_inv scope:SCOPE_SE
	ds_store_b16 v8, v68
	ds_store_b16 v8, v66 offset:18
	ds_store_b16 v8, v67 offset:36
	ds_store_b16 v8, v21 offset:54
	ds_store_b16 v8, v53 offset:72
	ds_store_b16 v9, v6
	ds_store_b16 v9, v71 offset:18
	ds_store_b16 v9, v77 offset:36
	ds_store_b16 v9, v52 offset:54
	ds_store_b16 v9, v59 offset:72
	ds_store_b16 v10, v2
	ds_store_b16 v10, v75 offset:18
	ds_store_b16 v10, v79 offset:36
	ds_store_b16 v10, v57 offset:54
	ds_store_b16 v10, v74 offset:72
	global_wb scope:SCOPE_SE
	s_wait_dscnt 0x0
	s_barrier_signal -1
	s_barrier_wait -1
	global_inv scope:SCOPE_SE
	global_load_b128 v[8:11], v20, s[8:9] offset:168
	v_lshlrev_b32_e32 v0, 4, v33
	s_clause 0x1
	global_load_b128 v[4:7], v51, s[8:9] offset:168
	global_load_b128 v[0:3], v0, s[8:9] offset:168
	v_add_nc_u32_e32 v20, 0xffffffa6, v22
	v_dual_mov_b32 v17, 0 :: v_dual_lshlrev_b32 v16, 1, v22
	v_mul_u32_u24_e32 v53, 0x91a3, v18
	v_mul_u32_u24_e32 v54, 0x91a3, v19
	s_wait_alu 0xf1ff
	v_cndmask_b32_e64 v20, v20, v24, s0
	v_add_nc_u32_e32 v49, 0x5a, v16
	v_mov_b32_e32 v21, v17
	v_lshlrev_b64_e32 v[51:52], 2, v[16:17]
	v_mov_b32_e32 v50, v17
	v_lshlrev_b32_e32 v20, 1, v20
	v_mul_u32_u24_e32 v55, 0x1c2, v30
	v_lshlrev_b32_e32 v33, 1, v33
	v_add_nc_u32_e32 v16, 0, v16
	v_add_co_u32 v18, s0, s8, v51
	v_lshlrev_b64_e32 v[49:50], 2, v[49:50]
	s_wait_alu 0xf1ff
	v_add_co_ci_u32_e64 v19, s0, s9, v52, s0
	v_lshlrev_b64_e32 v[51:52], 2, v[20:21]
	v_lshrrev_b32_e32 v21, 23, v53
	v_lshrrev_b32_e32 v53, 23, v54
	v_add_co_u32 v49, s0, s8, v49
	v_mul_u32_u24_e32 v54, 0x1c2, v29
	s_delay_alu instid0(VALU_DEP_4) | instskip(NEXT) | instid1(VALU_DEP_4)
	v_mul_lo_u16 v56, 0xe1, v21
	v_mul_lo_u16 v53, 0xe1, v53
	s_wait_alu 0xf1ff
	v_add_co_ci_u32_e64 v50, s0, s9, v50, s0
	v_add_co_u32 v29, s0, s8, v51
	s_wait_alu 0xf1ff
	v_add_co_ci_u32_e64 v30, s0, s9, v52, s0
	v_sub_nc_u16 v51, v26, v56
	v_sub_nc_u16 v52, v27, v53
	v_add3_u32 v32, 0, v54, v32
	v_add3_u32 v33, 0, v55, v33
	ds_load_u16 v35, v23
	ds_load_u16 v53, v23 offset:270
	ds_load_u16 v54, v23 offset:1890
	;; [unrolled: 1-line block ×14, first 2 shown]
	v_and_b32_e32 v51, 0xffff, v51
	v_and_b32_e32 v52, 0xffff, v52
	global_wb scope:SCOPE_SE
	s_wait_loadcnt_dscnt 0x0
	s_barrier_signal -1
	s_barrier_wait -1
	global_inv scope:SCOPE_SE
	v_cmp_lt_u32_e64 s0, 0x59, v22
	v_mul_u32_u24_e32 v21, 0x546, v21
	v_lshrrev_b32_e32 v67, 16, v8
	v_lshrrev_b32_e32 v68, 16, v9
	;; [unrolled: 1-line block ×12, first 2 shown]
	v_mul_f16_e32 v79, v58, v67
	v_mul_f16_e32 v67, v47, v67
	;; [unrolled: 1-line block ×24, first 2 shown]
	v_fma_f16 v47, v47, v8, -v79
	v_fmac_f16_e32 v67, v58, v8
	v_fma_f16 v8, v44, v9, -v80
	v_fmac_f16_e32 v68, v55, v9
	;; [unrolled: 2-line block ×12, first 2 shown]
	v_add_f16_e32 v37, v8, v9
	v_sub_f16_e32 v40, v47, v8
	v_sub_f16_e32 v41, v10, v9
	v_add_f16_e32 v42, v47, v10
	v_add_f16_e32 v46, v68, v69
	;; [unrolled: 1-line block ×5, first 2 shown]
	v_sub_f16_e32 v54, v67, v68
	v_sub_f16_e32 v55, v70, v69
	;; [unrolled: 1-line block ×4, first 2 shown]
	v_add_f16_e32 v60, v31, v11
	v_add_f16_e32 v61, v4, v5
	v_sub_f16_e32 v64, v11, v4
	v_sub_f16_e32 v65, v6, v5
	v_add_f16_e32 v66, v11, v6
	v_add_f16_e32 v80, v53, v71
	;; [unrolled: 1-line block ×4, first 2 shown]
	v_sub_f16_e32 v38, v67, v70
	v_sub_f16_e32 v43, v8, v47
	;; [unrolled: 1-line block ×5, first 2 shown]
	v_add_f16_e32 v81, v72, v73
	v_add_f16_e32 v85, v71, v74
	;; [unrolled: 1-line block ×5, first 2 shown]
	v_fma_f16 v37, -0.5, v37, v36
	v_fmac_f16_e32 v36, -0.5, v42
	v_add_f16_e32 v42, v76, v77
	v_fma_f16 v46, -0.5, v46, v35
	v_fmac_f16_e32 v35, -0.5, v56
	v_add_f16_e32 v56, v75, v78
	v_sub_f16_e32 v39, v68, v69
	v_sub_f16_e32 v47, v47, v10
	v_add_f16_e32 v3, v3, v8
	v_add_f16_e32 v45, v45, v68
	v_sub_f16_e32 v68, v75, v76
	v_add_f16_e32 v54, v54, v55
	v_sub_f16_e32 v55, v78, v77
	v_sub_f16_e32 v48, v8, v9
	v_sub_f16_e32 v89, v75, v78
	v_sub_f16_e32 v75, v76, v75
	v_add_f16_e32 v57, v57, v58
	v_sub_f16_e32 v58, v77, v78
	v_sub_f16_e32 v62, v71, v74
	;; [unrolled: 1-line block ×7, first 2 shown]
	v_add_f16_e32 v4, v60, v4
	v_add_f16_e32 v60, v64, v65
	v_fma_f16 v61, -0.5, v61, v31
	v_fmac_f16_e32 v31, -0.5, v66
	v_add_f16_e32 v65, v80, v72
	v_fma_f16 v72, -0.5, v88, v34
	v_fmac_f16_e32 v34, -0.5, v93
	v_sub_f16_e32 v11, v11, v6
	v_sub_f16_e32 v91, v7, v0
	;; [unrolled: 1-line block ×4, first 2 shown]
	v_add_f16_e32 v43, v43, v44
	v_sub_f16_e32 v44, v0, v1
	v_add_f16_e32 v64, v67, v79
	v_fma_f16 v67, -0.5, v81, v53
	v_fmac_f16_e32 v53, -0.5, v85
	v_add_f16_e32 v0, v87, v0
	v_add_f16_e32 v41, v41, v76
	v_fma_f16 v42, -0.5, v42, v59
	v_fmac_f16_e32 v59, -0.5, v56
	v_add_f16_e32 v55, v68, v55
	v_add_f16_e32 v3, v3, v9
	v_fmamk_f16 v9, v38, 0x3b9c, v37
	v_fmamk_f16 v68, v47, 0xbb9c, v46
	v_add_f16_e32 v56, v75, v58
	v_fmamk_f16 v58, v39, 0xbb9c, v36
	v_add_f16_e32 v45, v45, v69
	v_fmamk_f16 v69, v48, 0x3b9c, v35
	v_fmac_f16_e32 v36, 0x3b9c, v39
	v_fmac_f16_e32 v35, 0xbb9c, v48
	v_sub_f16_e32 v8, v1, v2
	v_fmac_f16_e32 v37, 0xbb9c, v38
	v_fmac_f16_e32 v46, 0x3b9c, v47
	v_fmamk_f16 v75, v63, 0xbb9c, v31
	v_fmac_f16_e32 v31, 0x3b9c, v63
	v_fmamk_f16 v80, v90, 0xbb9c, v34
	v_fmac_f16_e32 v34, 0x3b9c, v90
	v_sub_f16_e32 v84, v74, v73
	v_sub_f16_e32 v86, v73, v74
	;; [unrolled: 1-line block ×3, first 2 shown]
	v_add_f16_e32 v4, v4, v5
	v_fmamk_f16 v5, v62, 0x3b9c, v61
	v_fmac_f16_e32 v61, 0xbb9c, v62
	v_add_f16_e32 v65, v65, v73
	v_fmamk_f16 v73, v11, 0xbb9c, v67
	v_fmac_f16_e32 v67, 0x3b9c, v11
	v_fmamk_f16 v76, v82, 0x3b9c, v53
	v_fmac_f16_e32 v53, 0xbb9c, v82
	v_add_f16_e32 v0, v0, v1
	v_fmamk_f16 v1, v89, 0x3b9c, v72
	v_fmac_f16_e32 v72, 0xbb9c, v89
	v_add_f16_e32 v41, v41, v77
	v_fmamk_f16 v77, v7, 0xbb9c, v42
	v_fmac_f16_e32 v42, 0x3b9c, v7
	v_fmamk_f16 v81, v44, 0x3b9c, v59
	v_fmac_f16_e32 v59, 0xbb9c, v44
	v_fmac_f16_e32 v9, 0x38b4, v39
	;; [unrolled: 1-line block ×7, first 2 shown]
	v_add_f16_e32 v8, v94, v8
	v_fmac_f16_e32 v37, 0xb8b4, v39
	v_fmac_f16_e32 v46, 0x38b4, v48
	;; [unrolled: 1-line block ×4, first 2 shown]
	v_add_f16_e32 v66, v83, v84
	v_add_f16_e32 v71, v71, v86
	;; [unrolled: 1-line block ×5, first 2 shown]
	v_fmac_f16_e32 v5, 0x38b4, v63
	v_fmac_f16_e32 v61, 0xb8b4, v63
	;; [unrolled: 1-line block ×20, first 2 shown]
	v_add_f16_e32 v4, v4, v6
	v_add_f16_e32 v6, v65, v74
	v_fmac_f16_e32 v37, 0x34f2, v40
	v_fmac_f16_e32 v46, 0x34f2, v54
	;; [unrolled: 1-line block ×4, first 2 shown]
	v_add_f16_e32 v0, v0, v2
	v_add_f16_e32 v2, v41, v78
	v_fmac_f16_e32 v5, 0x34f2, v60
	v_fmac_f16_e32 v61, 0x34f2, v60
	;; [unrolled: 1-line block ×14, first 2 shown]
	ds_store_b16 v28, v3
	ds_store_b16 v28, v9 offset:90
	ds_store_b16 v28, v58 offset:180
	ds_store_b16 v28, v36 offset:270
	ds_store_b16 v28, v37 offset:360
	ds_store_b16 v32, v4
	ds_store_b16 v32, v5 offset:90
	ds_store_b16 v32, v75 offset:180
	ds_store_b16 v32, v31 offset:270
	ds_store_b16 v32, v61 offset:360
	;; [unrolled: 5-line block ×3, first 2 shown]
	global_wb scope:SCOPE_SE
	s_wait_dscnt 0x0
	s_barrier_signal -1
	s_barrier_wait -1
	global_inv scope:SCOPE_SE
	ds_load_u16 v11, v23 offset:1890
	ds_load_u16 v31, v23
	ds_load_u16 v34, v23 offset:270
	ds_load_u16 v36, v23 offset:540
	;; [unrolled: 1-line block ×13, first 2 shown]
	global_wb scope:SCOPE_SE
	s_wait_dscnt 0x0
	s_barrier_signal -1
	s_barrier_wait -1
	global_inv scope:SCOPE_SE
	ds_store_b16 v28, v10
	ds_store_b16 v28, v68 offset:90
	ds_store_b16 v28, v69 offset:180
	ds_store_b16 v28, v35 offset:270
	ds_store_b16 v28, v46 offset:360
	ds_store_b16 v32, v6
	ds_store_b16 v32, v73 offset:90
	ds_store_b16 v32, v76 offset:180
	ds_store_b16 v32, v53 offset:270
	ds_store_b16 v32, v67 offset:360
	;; [unrolled: 5-line block ×3, first 2 shown]
	v_lshlrev_b32_e32 v6, 3, v51
	global_wb scope:SCOPE_SE
	s_wait_dscnt 0x0
	s_barrier_signal -1
	s_barrier_wait -1
	global_inv scope:SCOPE_SE
	s_clause 0x1
	global_load_b64 v[0:1], v[18:19], off offset:888
	global_load_b64 v[2:3], v[29:30], off offset:888
	v_lshlrev_b32_e32 v8, 3, v52
	s_clause 0x2
	global_load_b64 v[4:5], v[49:50], off offset:888
	global_load_b64 v[6:7], v6, s[8:9] offset:888
	global_load_b64 v[8:9], v8, s[8:9] offset:888
	s_wait_alu 0xf1ff
	v_cndmask_b32_e64 v10, 0, 0x546, s0
	v_lshlrev_b32_e32 v28, 1, v51
	v_lshl_add_u32 v30, v52, 1, 0
	s_delay_alu instid0(VALU_DEP_3) | instskip(NEXT) | instid1(VALU_DEP_3)
	v_add3_u32 v29, 0, v10, v20
	v_add3_u32 v32, 0, v21, v28
	ds_load_u16 v10, v23 offset:1890
	ds_load_u16 v33, v23
	ds_load_u16 v35, v23 offset:270
	ds_load_u16 v42, v23 offset:540
	;; [unrolled: 1-line block ×13, first 2 shown]
	global_wb scope:SCOPE_SE
	s_wait_loadcnt_dscnt 0x0
	s_barrier_signal -1
	s_barrier_wait -1
	global_inv scope:SCOPE_SE
	v_lshrrev_b32_e32 v57, 16, v0
	v_lshrrev_b32_e32 v58, 16, v1
	;; [unrolled: 1-line block ×10, first 2 shown]
	v_mul_f16_e32 v67, v28, v57
	v_mul_f16_e32 v57, v40, v57
	;; [unrolled: 1-line block ×20, first 2 shown]
	v_fma_f16 v40, v40, v0, -v67
	v_fmac_f16_e32 v57, v28, v0
	v_fma_f16 v0, v48, v1, -v68
	v_fmac_f16_e32 v58, v50, v1
	;; [unrolled: 2-line block ×10, first 2 shown]
	v_add_f16_e32 v10, v40, v0
	v_add_f16_e32 v9, v31, v40
	v_sub_f16_e32 v28, v40, v0
	v_add_f16_e32 v39, v1, v2
	v_sub_f16_e32 v40, v59, v60
	v_add_f16_e32 v43, v35, v59
	v_add_f16_e32 v44, v59, v60
	;; [unrolled: 1-line block ×8, first 2 shown]
	v_sub_f16_e32 v48, v61, v62
	v_add_f16_e32 v50, v42, v61
	v_sub_f16_e32 v54, v63, v64
	v_add_f16_e32 v55, v46, v63
	;; [unrolled: 2-line block ×3, first 2 shown]
	v_add_f16_e32 v65, v65, v66
	v_sub_f16_e32 v11, v57, v58
	v_fmac_f16_e32 v31, -0.5, v10
	v_add_f16_e32 v38, v34, v1
	v_add_f16_e32 v20, v33, v57
	v_sub_f16_e32 v1, v1, v2
	v_add_f16_e32 v45, v36, v3
	v_sub_f16_e32 v3, v3, v4
	;; [unrolled: 2-line block ×3, first 2 shown]
	v_add_f16_e32 v57, v41, v7
	v_fmac_f16_e32 v34, -0.5, v39
	v_fmac_f16_e32 v35, -0.5, v44
	;; [unrolled: 1-line block ×7, first 2 shown]
	v_sub_f16_e32 v7, v7, v8
	v_add_f16_e32 v0, v9, v0
	v_fmac_f16_e32 v33, -0.5, v21
	v_fmac_f16_e32 v49, -0.5, v65
	v_fmamk_f16 v9, v11, 0x3aee, v31
	v_fmac_f16_e32 v31, 0xbaee, v11
	v_add_f16_e32 v2, v38, v2
	v_add_f16_e32 v4, v45, v4
	;; [unrolled: 1-line block ×4, first 2 shown]
	v_fmamk_f16 v10, v40, 0x3aee, v34
	v_fmac_f16_e32 v34, 0xbaee, v40
	v_fmamk_f16 v40, v1, 0xbaee, v35
	v_fmac_f16_e32 v35, 0x3aee, v1
	;; [unrolled: 2-line block ×4, first 2 shown]
	v_fmamk_f16 v3, v54, 0x3aee, v37
	v_fmamk_f16 v48, v5, 0xbaee, v46
	v_fmac_f16_e32 v46, 0x3aee, v5
	v_fmamk_f16 v5, v61, 0x3aee, v41
	v_add_f16_e32 v58, v20, v58
	v_add_f16_e32 v39, v50, v62
	v_fmamk_f16 v45, v28, 0xbaee, v33
	v_fmac_f16_e32 v33, 0x3aee, v28
	v_fmac_f16_e32 v37, 0xbaee, v54
	;; [unrolled: 1-line block ×3, first 2 shown]
	v_fmamk_f16 v50, v7, 0xbaee, v49
	v_fmac_f16_e32 v49, 0x3aee, v7
	ds_store_b16 v23, v0
	ds_store_b16 v23, v9 offset:450
	ds_store_b16 v23, v31 offset:900
	ds_store_b16 v29, v2
	ds_store_b16 v29, v10 offset:450
	ds_store_b16 v29, v34 offset:900
	ds_store_b16 v16, v4 offset:1440
	ds_store_b16 v16, v1 offset:1890
	ds_store_b16 v16, v36 offset:2340
	ds_store_b16 v32, v6
	ds_store_b16 v32, v3 offset:450
	ds_store_b16 v32, v37 offset:900
	;; [unrolled: 1-line block ×5, first 2 shown]
	global_wb scope:SCOPE_SE
	s_wait_dscnt 0x0
	s_barrier_signal -1
	s_barrier_wait -1
	global_inv scope:SCOPE_SE
	ds_load_u16 v7, v23 offset:1890
	ds_load_u16 v1, v23
	ds_load_u16 v0, v23 offset:270
	ds_load_u16 v2, v23 offset:540
	;; [unrolled: 1-line block ×13, first 2 shown]
	v_add_f16_e32 v38, v43, v60
	v_add_f16_e32 v43, v55, v64
	;; [unrolled: 1-line block ×3, first 2 shown]
	global_wb scope:SCOPE_SE
	s_wait_dscnt 0x0
	s_barrier_signal -1
	s_barrier_wait -1
	global_inv scope:SCOPE_SE
	ds_store_b16 v23, v58
	ds_store_b16 v23, v45 offset:450
	ds_store_b16 v23, v33 offset:900
	ds_store_b16 v29, v38
	ds_store_b16 v29, v40 offset:450
	ds_store_b16 v29, v35 offset:900
	;; [unrolled: 1-line block ×5, first 2 shown]
	ds_store_b16 v32, v43
	ds_store_b16 v32, v48 offset:450
	ds_store_b16 v32, v46 offset:900
	;; [unrolled: 1-line block ×5, first 2 shown]
	global_wb scope:SCOPE_SE
	s_wait_dscnt 0x0
	s_barrier_signal -1
	s_barrier_wait -1
	global_inv scope:SCOPE_SE
	s_and_saveexec_b32 s0, vcc_lo
	s_cbranch_execz .LBB0_15
; %bb.14:
	v_lshlrev_b32_e32 v16, 1, v27
	v_mul_hi_u32 v35, 0xc22e4507, v22
	v_dual_mov_b32 v34, v17 :: v_dual_add_nc_u32 v37, 0x87, v22
	v_mul_lo_u32 v33, s2, v15
	s_delay_alu instid0(VALU_DEP_4)
	v_lshlrev_b64_e32 v[29:30], 2, v[16:17]
	v_lshlrev_b32_e32 v16, 1, v26
	v_add_nc_u32_e32 v40, 0x21c, v22
	v_mul_hi_u32 v41, 0xc22e4507, v37
	v_lshrrev_b32_e32 v44, 9, v35
	v_mov_b32_e32 v35, v17
	v_add_co_u32 v26, vcc_lo, s8, v29
	s_wait_alu 0xfffd
	v_add_co_ci_u32_e32 v27, vcc_lo, s9, v30, vcc_lo
	v_lshlrev_b64_e32 v[29:30], 2, v[16:17]
	v_lshlrev_b32_e32 v16, 1, v25
	v_add_nc_u32_e32 v38, 0x10e, v22
	global_load_b64 v[26:27], v[26:27], off offset:2688
	v_lshrrev_b32_e32 v41, 9, v41
	v_dual_mov_b32 v36, v17 :: v_dual_add_nc_u32 v39, 0x195, v22
	v_lshlrev_b64_e32 v[31:32], 2, v[16:17]
	v_add_co_u32 v29, vcc_lo, s8, v29
	s_wait_alu 0xfffd
	v_add_co_ci_u32_e32 v30, vcc_lo, s9, v30, vcc_lo
	v_lshlrev_b32_e32 v16, 1, v24
	s_delay_alu instid0(VALU_DEP_4)
	v_add_co_u32 v31, vcc_lo, s8, v31
	s_wait_alu 0xfffd
	v_add_co_ci_u32_e32 v32, vcc_lo, s9, v32, vcc_lo
	s_clause 0x2
	global_load_b64 v[29:30], v[29:30], off offset:2688
	global_load_b64 v[24:25], v[31:32], off offset:2688
	;; [unrolled: 1-line block ×3, first 2 shown]
	v_lshlrev_b64_e32 v[31:32], 2, v[16:17]
	v_mul_lo_u32 v16, s3, v14
	v_mad_co_u64_u32 v[14:15], null, s2, v14, 0
	v_mul_hi_u32 v42, 0xc22e4507, v38
	v_lshlrev_b64_e32 v[12:13], 2, v[12:13]
	v_add_co_u32 v31, vcc_lo, s8, v31
	s_wait_alu 0xfffd
	v_add_co_ci_u32_e32 v32, vcc_lo, s9, v32, vcc_lo
	v_add3_u32 v15, v15, v33, v16
	v_mul_hi_u32 v16, 0xc22e4507, v40
	v_mul_u32_u24_e32 v33, 0x2a3, v44
	global_load_b64 v[31:32], v[31:32], off offset:2688
	v_lshrrev_b32_e32 v42, 9, v42
	v_lshlrev_b64_e32 v[14:15], 2, v[14:15]
	v_mul_hi_u32 v43, 0xc22e4507, v39
	ds_load_u16 v51, v23 offset:3780
	ds_load_u16 v52, v23 offset:3510
	;; [unrolled: 1-line block ×14, first 2 shown]
	ds_load_u16 v65, v23
	v_mov_b32_e32 v23, v17
	v_lshrrev_b32_e32 v49, 9, v16
	v_sub_nc_u32_e32 v16, v22, v33
	v_mul_u32_u24_e32 v22, 0x2a3, v41
	v_add_co_u32 v14, vcc_lo, s6, v14
	v_mul_u32_u24_e32 v33, 0x2a3, v42
	s_wait_alu 0xfffd
	v_add_co_ci_u32_e32 v15, vcc_lo, s7, v15, vcc_lo
	v_sub_nc_u32_e32 v22, v37, v22
	v_lshlrev_b32_e32 v37, 2, v16
	v_add_co_u32 v66, vcc_lo, v14, v12
	v_lshrrev_b32_e32 v45, 9, v43
	s_delay_alu instid0(VALU_DEP_4)
	v_mad_u32_u24 v16, 0x7e9, v41, v22
	v_sub_nc_u32_e32 v33, v38, v33
	s_wait_alu 0xfffd
	v_add_co_ci_u32_e32 v67, vcc_lo, v15, v13, vcc_lo
	v_mul_u32_u24_e32 v43, 0x2a3, v45
	v_lshlrev_b64_e32 v[12:13], 2, v[16:17]
	v_add_nc_u32_e32 v22, 0x2a3, v16
	v_add_nc_u32_e32 v16, 0x546, v16
	v_mul_u32_u24_e32 v44, 0x2a3, v49
	v_add_co_u32 v14, vcc_lo, v66, v37
	s_delay_alu instid0(VALU_DEP_4) | instskip(NEXT) | instid1(VALU_DEP_4)
	v_lshlrev_b64_e32 v[22:23], 2, v[22:23]
	v_lshlrev_b64_e32 v[37:38], 2, v[16:17]
	v_mad_u32_u24 v16, 0x7e9, v42, v33
	v_sub_nc_u32_e32 v46, v39, v43
	v_sub_nc_u32_e32 v50, v40, v44
	s_wait_alu 0xfffd
	v_add_co_ci_u32_e32 v15, vcc_lo, 0, v67, vcc_lo
	v_lshlrev_b64_e32 v[39:40], 2, v[16:17]
	v_add_nc_u32_e32 v33, 0x2a3, v16
	v_add_nc_u32_e32 v16, 0x546, v16
	v_add_co_u32 v12, vcc_lo, v66, v12
	s_wait_alu 0xfffd
	v_add_co_ci_u32_e32 v13, vcc_lo, v67, v13, vcc_lo
	v_add_co_u32 v22, vcc_lo, v66, v22
	v_lshlrev_b64_e32 v[43:44], 2, v[16:17]
	v_mad_u32_u24 v16, 0x7e9, v45, v46
	s_wait_alu 0xfffd
	v_add_co_ci_u32_e32 v23, vcc_lo, v67, v23, vcc_lo
	v_add_co_u32 v37, vcc_lo, v66, v37
	v_lshlrev_b64_e32 v[41:42], 2, v[33:34]
	s_wait_alu 0xfffd
	v_add_co_ci_u32_e32 v38, vcc_lo, v67, v38, vcc_lo
	v_add_co_u32 v39, vcc_lo, v66, v39
	v_lshlrev_b64_e32 v[45:46], 2, v[16:17]
	v_add_nc_u32_e32 v34, 0x2a3, v16
	v_add_nc_u32_e32 v16, 0x546, v16
	s_wait_alu 0xfffd
	v_add_co_ci_u32_e32 v40, vcc_lo, v67, v40, vcc_lo
	v_add_co_u32 v41, vcc_lo, v66, v41
	s_wait_alu 0xfffd
	v_add_co_ci_u32_e32 v42, vcc_lo, v67, v42, vcc_lo
	v_lshlrev_b64_e32 v[47:48], 2, v[16:17]
	v_mad_u32_u24 v16, 0x7e9, v49, v50
	v_add_co_u32 v43, vcc_lo, v66, v43
	v_lshlrev_b64_e32 v[33:34], 2, v[34:35]
	s_wait_alu 0xfffd
	v_add_co_ci_u32_e32 v44, vcc_lo, v67, v44, vcc_lo
	v_add_co_u32 v45, vcc_lo, v66, v45
	v_add_nc_u32_e32 v35, 0x2a3, v16
	s_wait_alu 0xfffd
	v_add_co_ci_u32_e32 v46, vcc_lo, v67, v46, vcc_lo
	v_lshlrev_b64_e32 v[49:50], 2, v[16:17]
	v_add_co_u32 v33, vcc_lo, v66, v33
	v_add_nc_u32_e32 v16, 0x546, v16
	s_wait_alu 0xfffd
	v_add_co_ci_u32_e32 v34, vcc_lo, v67, v34, vcc_lo
	v_add_co_u32 v47, vcc_lo, v66, v47
	v_lshlrev_b64_e32 v[35:36], 2, v[35:36]
	s_wait_alu 0xfffd
	v_add_co_ci_u32_e32 v48, vcc_lo, v67, v48, vcc_lo
	v_lshlrev_b64_e32 v[16:17], 2, v[16:17]
	v_add_co_u32 v49, vcc_lo, v66, v49
	s_wait_alu 0xfffd
	v_add_co_ci_u32_e32 v50, vcc_lo, v67, v50, vcc_lo
	v_add_co_u32 v35, vcc_lo, v66, v35
	s_wait_alu 0xfffd
	v_add_co_ci_u32_e32 v36, vcc_lo, v67, v36, vcc_lo
	;; [unrolled: 3-line block ×3, first 2 shown]
	s_wait_loadcnt 0x4
	v_lshrrev_b32_e32 v68, 16, v26
	v_lshrrev_b32_e32 v69, 16, v27
	s_wait_dscnt 0x9
	s_delay_alu instid0(VALU_DEP_2) | instskip(NEXT) | instid1(VALU_DEP_2)
	v_mul_f16_e32 v66, v56, v68
	v_mul_f16_e32 v67, v51, v69
	;; [unrolled: 1-line block ×4, first 2 shown]
	s_delay_alu instid0(VALU_DEP_4) | instskip(NEXT) | instid1(VALU_DEP_4)
	v_fma_f16 v28, v28, v26, -v66
	v_fma_f16 v21, v21, v27, -v67
	s_delay_alu instid0(VALU_DEP_4) | instskip(NEXT) | instid1(VALU_DEP_4)
	v_fmac_f16_e32 v68, v26, v56
	v_fmac_f16_e32 v69, v27, v51
	s_wait_loadcnt 0x3
	v_lshrrev_b32_e32 v70, 16, v29
	v_lshrrev_b32_e32 v71, 16, v30
	s_wait_loadcnt 0x2
	v_lshrrev_b32_e32 v66, 16, v24
	v_lshrrev_b32_e32 v67, 16, v25
	v_add_f16_e32 v73, v68, v69
	s_wait_dscnt 0x8
	v_mul_f16_e32 v26, v57, v70
	v_mul_f16_e32 v27, v52, v71
	v_mul_f16_e32 v51, v11, v70
	v_mul_f16_e32 v56, v20, v71
	s_wait_loadcnt 0x1
	v_lshrrev_b32_e32 v70, 16, v18
	v_lshrrev_b32_e32 v71, 16, v19
	v_add_f16_e32 v75, v28, v21
	v_fma_f16 v11, v11, v29, -v26
	v_fma_f16 v20, v20, v30, -v27
	v_fmac_f16_e32 v51, v29, v57
	v_fmac_f16_e32 v56, v30, v52
	s_wait_dscnt 0x7
	v_mul_f16_e32 v26, v58, v66
	v_mul_f16_e32 v27, v53, v67
	;; [unrolled: 1-line block ×4, first 2 shown]
	s_wait_loadcnt 0x0
	v_lshrrev_b32_e32 v52, 16, v31
	v_lshrrev_b32_e32 v57, 16, v32
	v_sub_f16_e32 v72, v28, v21
	v_add_f16_e32 v28, v10, v28
	s_wait_dscnt 0x5
	v_mul_f16_e32 v66, v60, v70
	v_mul_f16_e32 v67, v55, v71
	;; [unrolled: 1-line block ×4, first 2 shown]
	s_wait_dscnt 0x4
	v_add_f16_e32 v74, v68, v61
	v_fma_f16 v61, -0.5, v73, v61
	v_fma_f16 v10, -0.5, v75, v10
	v_add_f16_e32 v73, v51, v56
	v_add_f16_e32 v75, v11, v20
	v_fma_f16 v7, v7, v24, -v26
	v_fma_f16 v9, v9, v25, -v27
	v_fmac_f16_e32 v29, v24, v58
	v_fmac_f16_e32 v30, v25, v53
	v_mul_f16_e32 v24, v59, v52
	v_mul_f16_e32 v25, v54, v57
	;; [unrolled: 1-line block ×4, first 2 shown]
	v_add_f16_e32 v21, v28, v21
	v_sub_f16_e32 v28, v11, v20
	v_add_f16_e32 v11, v4, v11
	v_fma_f16 v6, v6, v18, -v66
	v_fma_f16 v8, v8, v19, -v67
	v_fmac_f16_e32 v70, v18, v60
	v_fmac_f16_e32 v71, v19, v55
	v_sub_f16_e32 v68, v68, v69
	v_add_f16_e32 v69, v69, v74
	s_wait_dscnt 0x3
	v_add_f16_e32 v74, v51, v62
	v_sub_f16_e32 v51, v51, v56
	v_fma_f16 v52, -0.5, v73, v62
	v_fma_f16 v4, -0.5, v75, v4
	v_add_f16_e32 v55, v29, v30
	v_add_f16_e32 v57, v7, v9
	v_fma_f16 v3, v3, v31, -v24
	v_fma_f16 v5, v5, v32, -v25
	v_fmac_f16_e32 v26, v31, v59
	v_fmac_f16_e32 v27, v32, v54
	v_add_f16_e32 v11, v11, v20
	v_sub_f16_e32 v20, v7, v9
	v_add_f16_e32 v7, v2, v7
	v_add_f16_e32 v25, v70, v71
	;; [unrolled: 1-line block ×4, first 2 shown]
	s_wait_dscnt 0x2
	v_add_f16_e32 v56, v29, v63
	v_fmamk_f16 v18, v72, 0x3aee, v61
	v_fmamk_f16 v19, v68, 0xbaee, v10
	v_sub_f16_e32 v24, v6, v8
	v_add_f16_e32 v6, v1, v6
	v_fmamk_f16 v58, v28, 0x3aee, v52
	v_fmac_f16_e32 v52, 0xbaee, v28
	v_fmamk_f16 v28, v51, 0xbaee, v4
	v_fmac_f16_e32 v4, 0x3aee, v51
	v_fma_f16 v51, -0.5, v55, v63
	v_fma_f16 v2, -0.5, v57, v2
	v_add_f16_e32 v55, v26, v27
	v_add_f16_e32 v57, v3, v5
	s_wait_dscnt 0x0
	v_add_f16_e32 v31, v70, v65
	v_sub_f16_e32 v54, v70, v71
	v_add_f16_e32 v7, v7, v9
	v_sub_f16_e32 v9, v3, v5
	v_add_f16_e32 v3, v0, v3
	v_fma_f16 v25, -0.5, v25, v65
	v_fma_f16 v1, -0.5, v32, v1
	v_sub_f16_e32 v29, v29, v30
	v_add_f16_e32 v30, v30, v56
	v_add_f16_e32 v56, v26, v64
	v_sub_f16_e32 v26, v26, v27
	v_add_f16_e32 v6, v6, v8
	v_pack_b32_f16 v8, v11, v53
	v_pack_b32_f16 v11, v19, v18
	v_fmamk_f16 v18, v20, 0x3aee, v51
	v_fmac_f16_e32 v51, 0xbaee, v20
	v_fma_f16 v20, -0.5, v55, v64
	v_fma_f16 v0, -0.5, v57, v0
	v_add_f16_e32 v31, v71, v31
	v_add_f16_e32 v3, v3, v5
	v_fmamk_f16 v5, v24, 0x3aee, v25
	v_fmac_f16_e32 v25, 0xbaee, v24
	v_fmamk_f16 v24, v54, 0xbaee, v1
	v_fmac_f16_e32 v1, 0x3aee, v54
	v_add_f16_e32 v27, v27, v56
	v_fmamk_f16 v19, v29, 0xbaee, v2
	v_fmac_f16_e32 v2, 0x3aee, v29
	v_fmamk_f16 v29, v9, 0x3aee, v20
	v_fmac_f16_e32 v20, 0xbaee, v9
	;; [unrolled: 2-line block ×3, first 2 shown]
	v_fmac_f16_e32 v61, 0xbaee, v72
	v_fmac_f16_e32 v10, 0x3aee, v68
	v_pack_b32_f16 v6, v6, v31
	v_pack_b32_f16 v1, v1, v25
	;; [unrolled: 1-line block ×13, first 2 shown]
	s_clause 0xe
	global_store_b32 v[14:15], v6, off
	global_store_b32 v[14:15], v1, off offset:2700
	global_store_b32 v[14:15], v5, off offset:5400
	global_store_b32 v[12:13], v3, off
	global_store_b32 v[22:23], v0, off
	;; [unrolled: 1-line block ×12, first 2 shown]
.LBB0_15:
	s_nop 0
	s_sendmsg sendmsg(MSG_DEALLOC_VGPRS)
	s_endpgm
	.section	.rodata,"a",@progbits
	.p2align	6, 0x0
	.amdhsa_kernel fft_rtc_fwd_len2025_factors_3_3_5_5_3_3_wgs_135_tpt_135_halfLds_half_op_CI_CI_unitstride_sbrr_dirReg
		.amdhsa_group_segment_fixed_size 0
		.amdhsa_private_segment_fixed_size 0
		.amdhsa_kernarg_size 104
		.amdhsa_user_sgpr_count 2
		.amdhsa_user_sgpr_dispatch_ptr 0
		.amdhsa_user_sgpr_queue_ptr 0
		.amdhsa_user_sgpr_kernarg_segment_ptr 1
		.amdhsa_user_sgpr_dispatch_id 0
		.amdhsa_user_sgpr_private_segment_size 0
		.amdhsa_wavefront_size32 1
		.amdhsa_uses_dynamic_stack 0
		.amdhsa_enable_private_segment 0
		.amdhsa_system_sgpr_workgroup_id_x 1
		.amdhsa_system_sgpr_workgroup_id_y 0
		.amdhsa_system_sgpr_workgroup_id_z 0
		.amdhsa_system_sgpr_workgroup_info 0
		.amdhsa_system_vgpr_workitem_id 0
		.amdhsa_next_free_vgpr 96
		.amdhsa_next_free_sgpr 39
		.amdhsa_reserve_vcc 1
		.amdhsa_float_round_mode_32 0
		.amdhsa_float_round_mode_16_64 0
		.amdhsa_float_denorm_mode_32 3
		.amdhsa_float_denorm_mode_16_64 3
		.amdhsa_fp16_overflow 0
		.amdhsa_workgroup_processor_mode 1
		.amdhsa_memory_ordered 1
		.amdhsa_forward_progress 0
		.amdhsa_round_robin_scheduling 0
		.amdhsa_exception_fp_ieee_invalid_op 0
		.amdhsa_exception_fp_denorm_src 0
		.amdhsa_exception_fp_ieee_div_zero 0
		.amdhsa_exception_fp_ieee_overflow 0
		.amdhsa_exception_fp_ieee_underflow 0
		.amdhsa_exception_fp_ieee_inexact 0
		.amdhsa_exception_int_div_zero 0
	.end_amdhsa_kernel
	.text
.Lfunc_end0:
	.size	fft_rtc_fwd_len2025_factors_3_3_5_5_3_3_wgs_135_tpt_135_halfLds_half_op_CI_CI_unitstride_sbrr_dirReg, .Lfunc_end0-fft_rtc_fwd_len2025_factors_3_3_5_5_3_3_wgs_135_tpt_135_halfLds_half_op_CI_CI_unitstride_sbrr_dirReg
                                        ; -- End function
	.section	.AMDGPU.csdata,"",@progbits
; Kernel info:
; codeLenInByte = 12176
; NumSgprs: 41
; NumVgprs: 96
; ScratchSize: 0
; MemoryBound: 0
; FloatMode: 240
; IeeeMode: 1
; LDSByteSize: 0 bytes/workgroup (compile time only)
; SGPRBlocks: 5
; VGPRBlocks: 11
; NumSGPRsForWavesPerEU: 41
; NumVGPRsForWavesPerEU: 96
; Occupancy: 15
; WaveLimiterHint : 1
; COMPUTE_PGM_RSRC2:SCRATCH_EN: 0
; COMPUTE_PGM_RSRC2:USER_SGPR: 2
; COMPUTE_PGM_RSRC2:TRAP_HANDLER: 0
; COMPUTE_PGM_RSRC2:TGID_X_EN: 1
; COMPUTE_PGM_RSRC2:TGID_Y_EN: 0
; COMPUTE_PGM_RSRC2:TGID_Z_EN: 0
; COMPUTE_PGM_RSRC2:TIDIG_COMP_CNT: 0
	.text
	.p2alignl 7, 3214868480
	.fill 96, 4, 3214868480
	.type	__hip_cuid_6d73f3608be73252,@object ; @__hip_cuid_6d73f3608be73252
	.section	.bss,"aw",@nobits
	.globl	__hip_cuid_6d73f3608be73252
__hip_cuid_6d73f3608be73252:
	.byte	0                               ; 0x0
	.size	__hip_cuid_6d73f3608be73252, 1

	.ident	"AMD clang version 19.0.0git (https://github.com/RadeonOpenCompute/llvm-project roc-6.4.0 25133 c7fe45cf4b819c5991fe208aaa96edf142730f1d)"
	.section	".note.GNU-stack","",@progbits
	.addrsig
	.addrsig_sym __hip_cuid_6d73f3608be73252
	.amdgpu_metadata
---
amdhsa.kernels:
  - .args:
      - .actual_access:  read_only
        .address_space:  global
        .offset:         0
        .size:           8
        .value_kind:     global_buffer
      - .offset:         8
        .size:           8
        .value_kind:     by_value
      - .actual_access:  read_only
        .address_space:  global
        .offset:         16
        .size:           8
        .value_kind:     global_buffer
      - .actual_access:  read_only
        .address_space:  global
        .offset:         24
        .size:           8
        .value_kind:     global_buffer
      - .actual_access:  read_only
        .address_space:  global
        .offset:         32
        .size:           8
        .value_kind:     global_buffer
      - .offset:         40
        .size:           8
        .value_kind:     by_value
      - .actual_access:  read_only
        .address_space:  global
        .offset:         48
        .size:           8
        .value_kind:     global_buffer
      - .actual_access:  read_only
        .address_space:  global
        .offset:         56
        .size:           8
        .value_kind:     global_buffer
      - .offset:         64
        .size:           4
        .value_kind:     by_value
      - .actual_access:  read_only
        .address_space:  global
        .offset:         72
        .size:           8
        .value_kind:     global_buffer
      - .actual_access:  read_only
        .address_space:  global
        .offset:         80
        .size:           8
        .value_kind:     global_buffer
      - .actual_access:  read_only
        .address_space:  global
        .offset:         88
        .size:           8
        .value_kind:     global_buffer
      - .actual_access:  write_only
        .address_space:  global
        .offset:         96
        .size:           8
        .value_kind:     global_buffer
    .group_segment_fixed_size: 0
    .kernarg_segment_align: 8
    .kernarg_segment_size: 104
    .language:       OpenCL C
    .language_version:
      - 2
      - 0
    .max_flat_workgroup_size: 135
    .name:           fft_rtc_fwd_len2025_factors_3_3_5_5_3_3_wgs_135_tpt_135_halfLds_half_op_CI_CI_unitstride_sbrr_dirReg
    .private_segment_fixed_size: 0
    .sgpr_count:     41
    .sgpr_spill_count: 0
    .symbol:         fft_rtc_fwd_len2025_factors_3_3_5_5_3_3_wgs_135_tpt_135_halfLds_half_op_CI_CI_unitstride_sbrr_dirReg.kd
    .uniform_work_group_size: 1
    .uses_dynamic_stack: false
    .vgpr_count:     96
    .vgpr_spill_count: 0
    .wavefront_size: 32
    .workgroup_processor_mode: 1
amdhsa.target:   amdgcn-amd-amdhsa--gfx1201
amdhsa.version:
  - 1
  - 2
...

	.end_amdgpu_metadata
